;; amdgpu-corpus repo=ROCm/rocFFT kind=compiled arch=gfx950 opt=O3
	.text
	.amdgcn_target "amdgcn-amd-amdhsa--gfx950"
	.amdhsa_code_object_version 6
	.protected	bluestein_single_back_len49_dim1_sp_op_CI_CI ; -- Begin function bluestein_single_back_len49_dim1_sp_op_CI_CI
	.globl	bluestein_single_back_len49_dim1_sp_op_CI_CI
	.p2align	8
	.type	bluestein_single_back_len49_dim1_sp_op_CI_CI,@function
bluestein_single_back_len49_dim1_sp_op_CI_CI: ; @bluestein_single_back_len49_dim1_sp_op_CI_CI
; %bb.0:
	s_load_dwordx4 s[16:19], s[0:1], 0x28
	v_mul_u32_u24_e32 v1, 0x2493, v0
	v_lshrrev_b32_e32 v2, 16, v1
	v_mad_u64_u32 v[12:13], s[2:3], s2, 9, v[2:3]
	v_mov_b32_e32 v13, 0
	s_waitcnt lgkmcnt(0)
	v_cmp_gt_u64_e32 vcc, s[16:17], v[12:13]
	s_and_saveexec_b64 s[2:3], vcc
	s_cbranch_execz .LBB0_2
; %bb.1:
	s_load_dwordx4 s[4:7], s[0:1], 0x18
	s_load_dwordx4 s[8:11], s[0:1], 0x0
	v_mul_lo_u16_e32 v1, 7, v2
	v_sub_u16_e32 v13, v0, v1
	v_mov_b32_e32 v4, s18
	s_waitcnt lgkmcnt(0)
	s_load_dwordx4 s[12:15], s[4:5], 0x0
	v_mov_b32_e32 v5, s19
	v_lshlrev_b32_e32 v40, 3, v13
	s_mov_b32 s20, 0x3eae86e6
	s_mov_b32 s21, 0xbf08b237
	s_waitcnt lgkmcnt(0)
	v_mad_u64_u32 v[0:1], s[2:3], s14, v12, 0
	v_mov_b32_e32 v2, v1
	v_mad_u64_u32 v[2:3], s[2:3], s15, v12, v[2:3]
	v_mov_b32_e32 v1, v2
	v_mad_u64_u32 v[2:3], s[2:3], s12, v13, 0
	v_mov_b32_e32 v6, v3
	v_mad_u64_u32 v[6:7], s[2:3], s13, v13, v[6:7]
	v_mov_b32_e32 v3, v6
	v_lshl_add_u64 v[0:1], v[0:1], 3, v[4:5]
	v_lshl_add_u64 v[0:1], v[2:3], 3, v[0:1]
	global_load_dwordx2 v[2:3], v[0:1], off
	v_mad_u64_u32 v[0:1], s[2:3], s12, 56, v[0:1]
	s_mul_i32 s4, s13, 56
	v_add_u32_e32 v1, s4, v1
	v_mad_u64_u32 v[4:5], s[2:3], s12, 56, v[0:1]
	v_add_u32_e32 v5, s4, v5
	global_load_dwordx2 v[26:27], v40, s[8:9]
	global_load_dwordx2 v[24:25], v40, s[8:9] offset:56
	global_load_dwordx2 v[6:7], v[4:5], off
	v_mad_u64_u32 v[4:5], s[2:3], s12, 56, v[4:5]
	global_load_dwordx2 v[0:1], v[0:1], off
	v_add_u32_e32 v5, s4, v5
	global_load_dwordx2 v[22:23], v40, s[8:9] offset:112
	global_load_dwordx2 v[20:21], v40, s[8:9] offset:168
	global_load_dwordx2 v[8:9], v[4:5], off
	v_mad_u64_u32 v[4:5], s[2:3], s12, 56, v[4:5]
	v_add_u32_e32 v5, s4, v5
	global_load_dwordx2 v[10:11], v[4:5], off
	global_load_dwordx2 v[18:19], v40, s[8:9] offset:224
	v_mad_u64_u32 v[4:5], s[2:3], s12, 56, v[4:5]
	v_add_u32_e32 v5, s4, v5
	global_load_dwordx2 v[28:29], v[4:5], off
	global_load_dwordx2 v[16:17], v40, s[8:9] offset:280
	v_mad_u64_u32 v[4:5], s[2:3], s12, 56, v[4:5]
	v_add_u32_e32 v5, s4, v5
	global_load_dwordx2 v[14:15], v40, s[8:9] offset:336
	global_load_dwordx2 v[30:31], v[4:5], off
	s_mov_b32 s2, 0x38e38e39
	v_mul_hi_u32 v4, v12, s2
	v_lshrrev_b32_e32 v4, 1, v4
	v_lshl_add_u32 v4, v4, 3, v4
	v_sub_u32_e32 v4, v12, v4
	v_mul_u32_u24_e32 v4, 49, v4
	v_lshlrev_b32_e32 v32, 3, v4
	v_add_u32_e32 v38, v40, v32
	s_load_dwordx4 s[4:7], s[6:7], 0x0
	s_mov_b32 s12, 0x3d64c772
	s_mov_b32 s13, 0x3f4a47b2
	;; [unrolled: 1-line block ×10, first 2 shown]
	s_load_dwordx2 s[0:1], s[0:1], 0x38
	s_waitcnt vmcnt(12)
	v_mul_f32_e32 v4, v3, v27
	v_mul_f32_e32 v5, v2, v27
	v_fmac_f32_e32 v4, v2, v26
	v_fma_f32 v5, v3, v26, -v5
	s_waitcnt vmcnt(9)
	v_mul_f32_e32 v2, v1, v25
	v_mul_f32_e32 v3, v0, v25
	v_fmac_f32_e32 v2, v0, v24
	v_fma_f32 v3, v1, v24, -v3
	ds_write2_b64 v38, v[4:5], v[2:3] offset1:7
	s_waitcnt vmcnt(8)
	v_mul_f32_e32 v0, v7, v23
	v_mul_f32_e32 v1, v6, v23
	s_waitcnt vmcnt(6)
	v_mul_f32_e32 v2, v9, v21
	v_mul_f32_e32 v3, v8, v21
	v_fmac_f32_e32 v0, v6, v22
	v_fma_f32 v1, v7, v22, -v1
	v_fmac_f32_e32 v2, v8, v20
	v_fma_f32 v3, v9, v20, -v3
	ds_write2_b64 v38, v[0:1], v[2:3] offset0:14 offset1:21
	s_waitcnt vmcnt(4)
	v_mul_f32_e32 v0, v11, v19
	v_mul_f32_e32 v1, v10, v19
	s_waitcnt vmcnt(2)
	v_mul_f32_e32 v2, v29, v17
	v_mul_f32_e32 v3, v28, v17
	v_fmac_f32_e32 v0, v10, v18
	v_fma_f32 v1, v11, v18, -v1
	v_fmac_f32_e32 v2, v28, v16
	v_fma_f32 v3, v29, v16, -v3
	ds_write2_b64 v38, v[0:1], v[2:3] offset0:28 offset1:35
	s_waitcnt vmcnt(0)
	v_mul_f32_e32 v0, v31, v15
	v_mul_f32_e32 v1, v30, v15
	v_fmac_f32_e32 v0, v30, v14
	v_fma_f32 v1, v31, v14, -v1
	ds_write_b64 v38, v[0:1] offset:336
	s_waitcnt lgkmcnt(0)
	; wave barrier
	s_waitcnt lgkmcnt(0)
	ds_read2_b64 v[0:3], v38 offset1:7
	ds_read_b64 v[28:29], v38 offset:336
	ds_read2_b64 v[4:7], v38 offset0:14 offset1:21
	ds_read2_b64 v[8:11], v38 offset0:28 offset1:35
	v_mul_lo_u16_e32 v30, 7, v13
	v_lshl_add_u32 v39, v30, 3, v32
	s_waitcnt lgkmcnt(2)
	v_pk_add_f32 v[30:31], v[2:3], v[28:29]
	v_pk_add_f32 v[32:33], v[2:3], v[28:29] neg_lo:[0,1] neg_hi:[0,1]
	s_waitcnt lgkmcnt(0)
	v_pk_add_f32 v[34:35], v[4:5], v[10:11]
	v_pk_add_f32 v[36:37], v[4:5], v[10:11] neg_lo:[0,1] neg_hi:[0,1]
	v_mov_b32_e32 v4, v6
	v_mov_b32_e32 v10, v8
	;; [unrolled: 1-line block ×4, first 2 shown]
	v_pk_add_f32 v[4:5], v[4:5], v[10:11]
	v_pk_add_f32 v[2:3], v[2:3], v[28:29]
	v_pk_add_f32 v[6:7], v[8:9], v[6:7] neg_lo:[0,1] neg_hi:[0,1]
	v_mov_b32_e32 v35, v5
	v_mov_b32_e32 v30, v2
	;; [unrolled: 1-line block ×6, first 2 shown]
	v_pk_add_f32 v[10:11], v[34:35], v[30:31]
	v_pk_add_f32 v[8:9], v[8:9], v[28:29] neg_lo:[0,1] neg_hi:[0,1]
	v_pk_add_f32 v[28:29], v[2:3], v[4:5] neg_lo:[0,1] neg_hi:[0,1]
	v_mov_b32_e32 v44, v7
	v_mov_b32_e32 v45, v32
	v_mov_b32_e32 v46, v37
	v_mov_b32_e32 v47, v6
	v_mov_b32_e32 v5, v3
	v_pk_add_f32 v[42:43], v[6:7], v[36:37]
	v_pk_add_f32 v[44:45], v[44:45], v[46:47] neg_lo:[0,1] neg_hi:[0,1]
	v_mov_b32_e32 v46, v33
	v_mov_b32_e32 v6, v7
	;; [unrolled: 1-line block ×3, first 2 shown]
	v_pk_add_f32 v[2:3], v[4:5], v[10:11]
	v_pk_add_f32 v[6:7], v[46:47], v[6:7] neg_lo:[0,1] neg_hi:[0,1]
	v_pk_add_f32 v[4:5], v[42:43], v[32:33]
	v_pk_add_f32 v[0:1], v[2:3], v[0:1]
	v_pk_mul_f32 v[8:9], v[8:9], s[12:13]
	v_pk_mul_f32 v[44:45], v[44:45], s[24:25]
	;; [unrolled: 1-line block ×3, first 2 shown]
	v_pk_mul_f32 v[42:43], v[4:5], s[18:19] op_sel_hi:[1,0]
	v_pk_mul_f32 v[46:47], v[6:7], s[20:21]
	v_pk_fma_f32 v[2:3], v[2:3], s[2:3], v[0:1] op_sel_hi:[1,0,1] neg_lo:[1,0,0] neg_hi:[1,0,0]
	v_pk_fma_f32 v[28:29], v[28:29], s[14:15], v[8:9]
	v_pk_fma_f32 v[6:7], v[6:7], s[20:21], v[44:45]
	v_pk_add_f32 v[28:29], v[28:29], v[2:3]
	v_pk_add_f32 v[6:7], v[42:43], v[6:7] op_sel:[1,0] op_sel_hi:[0,1]
	s_waitcnt lgkmcnt(0)
	; wave barrier
	ds_write_b64 v39, v[0:1]
	v_pk_add_f32 v[0:1], v[34:35], v[30:31] neg_lo:[0,1] neg_hi:[0,1]
	v_mov_b32_e32 v30, v10
	v_mov_b32_e32 v31, v9
	;; [unrolled: 1-line block ×3, first 2 shown]
	v_pk_add_f32 v[42:43], v[28:29], v[6:7]
	v_pk_add_f32 v[6:7], v[28:29], v[6:7] neg_lo:[0,1] neg_hi:[0,1]
	v_pk_add_f32 v[28:29], v[36:37], v[32:33] neg_lo:[0,1] neg_hi:[0,1]
	v_pk_fma_f32 v[30:31], v[0:1], s[16:17], v[30:31] op_sel_hi:[1,0,1] neg_lo:[1,0,1] neg_hi:[1,0,1]
	v_pk_fma_f32 v[0:1], v[0:1], s[16:17], v[8:9] op_sel_hi:[1,0,1] neg_lo:[0,0,1] neg_hi:[0,0,1]
	v_mov_b32_e32 v8, v47
	v_mov_b32_e32 v9, v44
	;; [unrolled: 1-line block ×4, first 2 shown]
	v_pk_fma_f32 v[8:9], v[28:29], s[22:23], v[8:9] op_sel_hi:[1,0,1] neg_lo:[0,0,1] neg_hi:[0,0,1]
	v_pk_fma_f32 v[32:33], v[28:29], s[22:23], v[32:33] op_sel_hi:[1,0,1] neg_lo:[1,0,1] neg_hi:[1,0,1]
	v_pk_add_f32 v[30:31], v[30:31], v[2:3]
	v_pk_add_f32 v[0:1], v[0:1], v[2:3]
	v_pk_fma_f32 v[2:3], v[4:5], s[18:19], v[8:9] op_sel_hi:[1,0,1]
	v_pk_fma_f32 v[32:33], v[4:5], s[18:19], v[32:33] op_sel_hi:[1,0,1]
	v_pk_add_f32 v[4:5], v[0:1], v[2:3] op_sel:[0,1] op_sel_hi:[1,0] neg_lo:[0,1] neg_hi:[0,1]
	v_pk_add_f32 v[0:1], v[0:1], v[2:3] op_sel:[0,1] op_sel_hi:[1,0]
	v_mov_b32_e32 v2, v4
	v_mov_b32_e32 v3, v1
	;; [unrolled: 1-line block ×3, first 2 shown]
	v_pk_add_f32 v[34:35], v[30:31], v[32:33] op_sel:[0,1] op_sel_hi:[1,0]
	v_pk_add_f32 v[30:31], v[30:31], v[32:33] op_sel:[0,1] op_sel_hi:[1,0] neg_lo:[0,1] neg_hi:[0,1]
	ds_write2_b64 v39, v[2:3], v[0:1] offset0:3 offset1:4
	v_mul_u32_u24_e32 v0, 6, v13
	v_mov_b32_e32 v32, v42
	v_mov_b32_e32 v33, v7
	;; [unrolled: 1-line block ×6, first 2 shown]
	v_lshlrev_b32_e32 v28, 3, v0
	ds_write2_b64 v39, v[32:33], v[36:37] offset0:1 offset1:2
	ds_write2_b64 v39, v[30:31], v[6:7] offset0:5 offset1:6
	s_waitcnt lgkmcnt(0)
	; wave barrier
	s_waitcnt lgkmcnt(0)
	global_load_dwordx4 v[8:11], v28, s[10:11]
	global_load_dwordx4 v[4:7], v28, s[10:11] offset:16
	global_load_dwordx4 v[0:3], v28, s[10:11] offset:32
	ds_read2_b64 v[42:45], v38 offset1:7
	ds_read2_b64 v[28:31], v38 offset0:14 offset1:21
	ds_read2_b64 v[46:49], v38 offset0:28 offset1:35
	ds_read_b64 v[32:33], v38 offset:336
	s_mov_b32 s10, 0xbeae86e6
	s_waitcnt lgkmcnt(3)
	v_mov_b32_e32 v50, v45
	s_waitcnt lgkmcnt(2)
	v_mov_b32_e32 v51, v30
	;; [unrolled: 2-line block ×4, first 2 shown]
	v_mov_b32_e32 v69, v48
	v_mov_b32_e32 v68, v46
	s_mov_b32 s11, 0x3f08b237
	s_waitcnt vmcnt(2)
	v_pk_mul_f32 v[36:37], v[44:45], v[8:9] op_sel:[1,0] op_sel_hi:[0,1]
	v_mov_b32_e32 v34, v11
	s_waitcnt vmcnt(0)
	v_pk_mul_f32 v[54:55], v[32:33], v[2:3] op_sel:[1,0] op_sel_hi:[0,1]
	v_mov_b32_e32 v35, v4
	v_mov_b32_e32 v56, v36
	;; [unrolled: 1-line block ×4, first 2 shown]
	v_mul_f32_e32 v33, v29, v11
	v_mov_b32_e32 v36, v28
	v_mov_b32_e32 v37, v30
	v_pk_add_f32 v[54:55], v[56:57], v[54:55]
	v_fma_f32 v57, v28, v10, -v33
	v_pk_mul_f32 v[34:35], v[36:37], v[34:35]
	v_mov_b32_e32 v28, v31
	v_mov_b32_e32 v36, v5
	;; [unrolled: 1-line block ×7, first 2 shown]
	v_pk_fma_f32 v[60:61], v[28:29], v[36:37], v[34:35] op_sel:[0,0,1] op_sel_hi:[1,1,0] neg_lo:[1,0,0] neg_hi:[1,0,0]
	v_pk_fma_f32 v[58:59], v[28:29], v[58:59], v[34:35] op_sel:[0,0,1] op_sel_hi:[1,1,0]
	v_mov_b32_e32 v33, v47
	v_mov_b32_e32 v28, v2
	;; [unrolled: 1-line block ×3, first 2 shown]
	v_pk_mul_f32 v[34:35], v[52:53], v[30:31]
	v_mov_b32_e32 v36, v9
	v_mov_b32_e32 v37, v5
	v_pk_fma_f32 v[52:53], v[32:33], v[28:29], v[34:35] neg_lo:[0,0,1] neg_hi:[0,0,1]
	v_pk_fma_f32 v[62:63], v[32:33], v[28:29], v[34:35]
	v_mov_b32_e32 v34, v8
	v_mov_b32_e32 v35, v4
	v_pk_mul_f32 v[50:51], v[50:51], v[36:37]
	v_mov_b32_e32 v32, v55
	v_pk_fma_f32 v[66:67], v[44:45], v[34:35], v[50:51] neg_lo:[0,0,1] neg_hi:[0,0,1]
	v_pk_add_f32 v[64:65], v[54:55], v[32:33]
	v_mov_b32_e32 v32, v54
	v_mov_b32_e32 v33, v66
	;; [unrolled: 1-line block ×4, first 2 shown]
	v_mul_f32_e32 v41, v49, v1
	v_pk_add_f32 v[54:55], v[32:33], v[54:55] neg_lo:[0,1] neg_hi:[0,1]
	v_mov_b32_e32 v32, v7
	v_mov_b32_e32 v33, v0
	v_fma_f32 v71, v48, v0, -v41
	v_mov_b32_e32 v48, v47
	v_pk_mul_f32 v[48:49], v[48:49], v[32:33]
	v_pk_fma_f32 v[44:45], v[44:45], v[34:35], v[50:51]
	v_pk_fma_f32 v[46:47], v[46:47], v[6:7], v[48:49] neg_lo:[0,0,1] neg_hi:[0,0,1]
	v_mov_b32_e32 v7, v1
	v_pk_fma_f32 v[48:49], v[68:69], v[6:7], v[48:49]
	v_mov_b32_e32 v67, v45
	v_mov_b32_e32 v53, v63
	;; [unrolled: 1-line block ×4, first 2 shown]
	v_pk_add_f32 v[50:51], v[66:67], v[52:53]
	v_mov_b32_e32 v52, v63
	v_mov_b32_e32 v53, v46
	;; [unrolled: 1-line block ×4, first 2 shown]
	v_add_f32_e32 v48, v57, v71
	v_pk_add_f32 v[56:57], v[56:57], v[70:71] neg_lo:[0,1] neg_hi:[0,1]
	v_pk_add_f32 v[44:45], v[52:53], v[44:45] neg_lo:[0,1] neg_hi:[0,1]
	v_mov_b32_e32 v61, v59
	v_mov_b32_e32 v47, v49
	;; [unrolled: 1-line block ×6, first 2 shown]
	v_pk_add_f32 v[46:47], v[60:61], v[46:47]
	v_pk_add_f32 v[52:53], v[52:53], v[58:59] neg_lo:[0,1] neg_hi:[0,1]
	v_mov_b32_e32 v58, v54
	v_pk_add_f32 v[60:61], v[44:45], v[56:57]
	v_mov_b32_e32 v45, v57
	v_mov_b32_e32 v41, v64
	v_pk_add_f32 v[44:45], v[58:59], v[44:45] neg_lo:[0,1] neg_hi:[0,1]
	v_pk_add_f32 v[58:59], v[46:47], v[40:41]
	v_add_f32_e32 v62, v48, v50
	v_mov_b32_e32 v63, v51
	v_mov_b32_e32 v58, v46
	v_pk_add_f32 v[58:59], v[62:63], v[58:59]
	v_mov_b32_e32 v62, v46
	v_mov_b32_e32 v63, v64
	;; [unrolled: 1-line block ×3, first 2 shown]
	v_pk_add_f32 v[62:63], v[62:63], v[48:49] neg_lo:[0,1] neg_hi:[0,1]
	v_pk_add_f32 v[42:43], v[58:59], v[42:43]
	v_pk_mul_f32 v[62:63], v[62:63], s[12:13]
	v_pk_mul_f32 v[52:53], v[52:53], s[24:25]
	v_pk_add_f32 v[66:67], v[50:51], v[46:47] neg_lo:[0,1] neg_hi:[0,1]
	v_pk_add_f32 v[60:61], v[60:61], v[54:55]
	v_pk_fma_f32 v[58:59], v[58:59], s[2:3], v[42:43] op_sel_hi:[1,0,1] neg_lo:[1,0,0] neg_hi:[1,0,0]
	v_pk_fma_f32 v[68:69], v[66:67], s[14:15], v[62:63]
	v_pk_fma_f32 v[70:71], v[44:45], s[20:21], v[52:53]
	v_pk_add_f32 v[68:69], v[68:69], v[58:59]
	v_pk_fma_f32 v[70:71], v[60:61], s[18:19], v[70:71] op_sel_hi:[1,0,1]
	v_mov_b32_e32 v49, v47
	v_pk_add_f32 v[72:73], v[68:69], v[70:71]
	v_pk_add_f32 v[68:69], v[68:69], v[70:71] neg_lo:[0,1] neg_hi:[0,1]
	v_mov_b32_e32 v70, v72
	v_mov_b32_e32 v71, v69
	;; [unrolled: 1-line block ×3, first 2 shown]
	ds_write2_b64 v38, v[42:43], v[70:71] offset1:7
	v_pk_add_f32 v[42:43], v[48:49], v[50:51] neg_lo:[0,1] neg_hi:[0,1]
	v_pk_mul_f32 v[48:49], v[66:67], s[14:15]
	v_pk_mul_f32 v[44:45], v[44:45], s[20:21]
	v_pk_add_f32 v[46:47], v[56:57], v[54:55] neg_lo:[0,1] neg_hi:[0,1]
	v_mov_b32_e32 v50, v48
	v_mov_b32_e32 v51, v63
	;; [unrolled: 1-line block ×6, first 2 shown]
	v_pk_fma_f32 v[50:51], v[42:43], s[16:17], v[50:51] op_sel_hi:[1,0,1] neg_lo:[1,0,1] neg_hi:[1,0,1]
	v_pk_fma_f32 v[54:55], v[46:47], s[22:23], v[54:55] op_sel_hi:[1,0,1] neg_lo:[1,0,1] neg_hi:[1,0,1]
	;; [unrolled: 1-line block ×4, first 2 shown]
	v_pk_add_f32 v[50:51], v[50:51], v[58:59]
	v_pk_fma_f32 v[54:55], v[60:61], s[18:19], v[54:55] op_sel_hi:[1,0,1]
	v_pk_add_f32 v[42:43], v[42:43], v[58:59]
	v_pk_fma_f32 v[44:45], v[60:61], s[18:19], v[44:45] op_sel_hi:[1,0,1]
	v_pk_add_f32 v[56:57], v[50:51], v[54:55]
	v_pk_add_f32 v[50:51], v[50:51], v[54:55] neg_lo:[0,1] neg_hi:[0,1]
	v_pk_add_f32 v[48:49], v[42:43], v[44:45] neg_lo:[0,1] neg_hi:[0,1]
	v_pk_add_f32 v[42:43], v[42:43], v[44:45]
	v_mov_b32_e32 v46, v56
	v_mov_b32_e32 v47, v51
	;; [unrolled: 1-line block ×7, first 2 shown]
	ds_write2_b64 v38, v[46:47], v[44:45] offset0:14 offset1:21
	ds_write2_b64 v38, v[42:43], v[50:51] offset0:28 offset1:35
	ds_write_b64 v38, v[68:69] offset:336
	s_waitcnt lgkmcnt(0)
	; wave barrier
	s_waitcnt lgkmcnt(0)
	global_load_dwordx2 v[44:45], v40, s[8:9] offset:392
	s_add_u32 s8, s8, 0x188
	s_addc_u32 s9, s9, 0
	global_load_dwordx2 v[48:49], v40, s[8:9] offset:56
	global_load_dwordx2 v[50:51], v40, s[8:9] offset:112
	;; [unrolled: 1-line block ×6, first 2 shown]
	ds_read2_b64 v[40:43], v38 offset1:7
	s_mov_b32 s20, s11
	s_mov_b32 s21, s10
	;; [unrolled: 1-line block ×4, first 2 shown]
	s_waitcnt vmcnt(6) lgkmcnt(0)
	v_mul_f32_e32 v46, v41, v45
	v_mul_f32_e32 v61, v40, v45
	v_fma_f32 v60, v40, v44, -v46
	v_fmac_f32_e32 v61, v41, v44
	ds_read2_b64 v[44:47], v38 offset0:14 offset1:21
	s_waitcnt vmcnt(5)
	v_mul_f32_e32 v40, v43, v49
	v_mul_f32_e32 v41, v42, v49
	v_fma_f32 v40, v42, v48, -v40
	v_fmac_f32_e32 v41, v43, v48
	ds_write2_b64 v38, v[60:61], v[40:41] offset1:7
	s_waitcnt vmcnt(4) lgkmcnt(1)
	v_mul_f32_e32 v40, v45, v51
	v_fma_f32 v48, v44, v50, -v40
	ds_read2_b64 v[40:43], v38 offset0:28 offset1:35
	v_mul_f32_e32 v49, v44, v51
	v_fmac_f32_e32 v49, v45, v50
	s_waitcnt vmcnt(3)
	v_mul_f32_e32 v44, v47, v53
	v_mul_f32_e32 v45, v46, v53
	v_fma_f32 v44, v46, v52, -v44
	v_fmac_f32_e32 v45, v47, v52
	ds_write2_b64 v38, v[48:49], v[44:45] offset0:14 offset1:21
	s_waitcnt vmcnt(2) lgkmcnt(1)
	v_mul_f32_e32 v44, v41, v55
	v_mul_f32_e32 v45, v40, v55
	v_fma_f32 v44, v40, v54, -v44
	v_fmac_f32_e32 v45, v41, v54
	ds_read_b64 v[40:41], v38 offset:336
	s_waitcnt vmcnt(1)
	v_mul_f32_e32 v46, v43, v57
	v_mul_f32_e32 v47, v42, v57
	v_fma_f32 v46, v42, v56, -v46
	v_fmac_f32_e32 v47, v43, v56
	s_waitcnt vmcnt(0) lgkmcnt(0)
	v_mul_f32_e32 v42, v41, v59
	v_mul_f32_e32 v43, v40, v59
	v_fma_f32 v42, v40, v58, -v42
	v_fmac_f32_e32 v43, v41, v58
	ds_write2_b64 v38, v[44:45], v[46:47] offset0:28 offset1:35
	ds_write_b64 v38, v[42:43] offset:336
	s_waitcnt lgkmcnt(0)
	; wave barrier
	s_waitcnt lgkmcnt(0)
	ds_read2_b64 v[40:43], v38 offset0:14 offset1:21
	ds_read2_b64 v[44:47], v38 offset0:28 offset1:35
	ds_read2_b64 v[48:51], v38 offset1:7
	ds_read_b64 v[52:53], v38 offset:336
	s_waitcnt lgkmcnt(0)
	; wave barrier
	s_waitcnt lgkmcnt(0)
	v_pk_add_f32 v[54:55], v[40:41], v[46:47]
	v_pk_add_f32 v[56:57], v[40:41], v[46:47] neg_lo:[0,1] neg_hi:[0,1]
	v_mov_b32_e32 v40, v42
	v_mov_b32_e32 v46, v44
	v_pk_add_f32 v[58:59], v[50:51], v[52:53]
	v_pk_add_f32 v[60:61], v[50:51], v[52:53] neg_lo:[0,1] neg_hi:[0,1]
	v_mov_b32_e32 v51, v43
	v_mov_b32_e32 v53, v45
	v_pk_add_f32 v[40:41], v[40:41], v[46:47]
	v_pk_add_f32 v[42:43], v[44:45], v[42:43] neg_lo:[0,1] neg_hi:[0,1]
	v_pk_add_f32 v[44:45], v[50:51], v[52:53]
	v_mov_b32_e32 v46, v40
	v_mov_b32_e32 v47, v59
	;; [unrolled: 1-line block ×4, first 2 shown]
	v_pk_add_f32 v[46:47], v[46:47], v[50:51] neg_lo:[0,1] neg_hi:[0,1]
	v_mov_b32_e32 v50, v43
	v_mov_b32_e32 v51, v60
	v_mov_b32_e32 v52, v57
	v_mov_b32_e32 v53, v42
	v_pk_add_f32 v[50:51], v[50:51], v[52:53] neg_lo:[0,1] neg_hi:[0,1]
	v_mov_b32_e32 v52, v61
	v_mov_b32_e32 v62, v43
	;; [unrolled: 1-line block ×5, first 2 shown]
	v_pk_add_f32 v[52:53], v[52:53], v[62:63] neg_lo:[0,1] neg_hi:[0,1]
	v_pk_add_f32 v[62:63], v[44:45], v[40:41] neg_lo:[0,1] neg_hi:[0,1]
	v_mov_b32_e32 v41, v45
	v_pk_add_f32 v[44:45], v[54:55], v[58:59]
	v_pk_add_f32 v[42:43], v[42:43], v[56:57]
	;; [unrolled: 1-line block ×5, first 2 shown]
	v_pk_mul_f32 v[48:49], v[50:51], s[20:21]
	v_pk_mul_f32 v[50:51], v[42:43], s[8:9] op_sel_hi:[1,0]
	v_pk_fma_f32 v[64:65], v[52:53], s[10:11], v[48:49]
	v_pk_mul_f32 v[46:47], v[46:47], s[12:13]
	v_pk_add_f32 v[54:55], v[54:55], v[58:59] neg_lo:[0,1] neg_hi:[0,1]
	v_pk_mul_f32 v[58:59], v[62:63], s[14:15]
	v_pk_mul_f32 v[52:53], v[52:53], s[10:11]
	v_pk_add_f32 v[50:51], v[50:51], v[64:65] op_sel:[1,0] op_sel_hi:[0,1]
	v_pk_fma_f32 v[64:65], v[62:63], s[14:15], v[46:47]
	v_pk_add_f32 v[56:57], v[56:57], v[60:61] neg_lo:[0,1] neg_hi:[0,1]
	v_mov_b32_e32 v60, v58
	v_mov_b32_e32 v61, v47
	;; [unrolled: 1-line block ×4, first 2 shown]
	v_pk_fma_f32 v[40:41], v[40:41], s[2:3], v[44:45] op_sel_hi:[1,0,1] neg_lo:[1,0,0] neg_hi:[1,0,0]
	v_pk_fma_f32 v[60:61], v[54:55], s[16:17], v[60:61] op_sel_hi:[1,0,1] neg_lo:[1,0,1] neg_hi:[1,0,1]
	;; [unrolled: 1-line block ×3, first 2 shown]
	v_pk_add_f32 v[64:65], v[64:65], v[40:41]
	v_pk_add_f32 v[60:61], v[60:61], v[40:41]
	v_pk_fma_f32 v[62:63], v[42:43], s[8:9], v[62:63] op_sel_hi:[1,0,1]
	v_pk_add_f32 v[66:67], v[64:65], v[50:51]
	v_pk_add_f32 v[50:51], v[64:65], v[50:51] neg_lo:[0,1] neg_hi:[0,1]
	v_pk_add_f32 v[64:65], v[60:61], v[62:63] op_sel:[0,1] op_sel_hi:[1,0]
	v_pk_add_f32 v[60:61], v[60:61], v[62:63] op_sel:[0,1] op_sel_hi:[1,0] neg_lo:[0,1] neg_hi:[0,1]
	v_mov_b32_e32 v62, v66
	v_mov_b32_e32 v63, v51
	;; [unrolled: 1-line block ×5, first 2 shown]
	ds_write2_b64 v39, v[62:63], v[68:69] offset0:1 offset1:2
	ds_write_b64 v39, v[44:45]
	v_pk_fma_f32 v[44:45], v[54:55], s[16:17], v[46:47] op_sel_hi:[1,0,1] neg_lo:[0,0,1] neg_hi:[0,0,1]
	v_mov_b32_e32 v46, v53
	v_mov_b32_e32 v47, v48
	v_pk_fma_f32 v[46:47], v[56:57], s[18:19], v[46:47] op_sel_hi:[1,0,1] neg_lo:[0,0,1] neg_hi:[0,0,1]
	v_pk_add_f32 v[40:41], v[44:45], v[40:41]
	v_pk_fma_f32 v[42:43], v[42:43], s[8:9], v[46:47] op_sel_hi:[1,0,1]
	v_mov_b32_e32 v61, v65
	v_pk_add_f32 v[44:45], v[40:41], v[42:43] op_sel:[0,1] op_sel_hi:[1,0] neg_lo:[0,1] neg_hi:[0,1]
	v_pk_add_f32 v[40:41], v[40:41], v[42:43] op_sel:[0,1] op_sel_hi:[1,0]
	v_mov_b32_e32 v42, v44
	v_mov_b32_e32 v43, v41
	;; [unrolled: 1-line block ×4, first 2 shown]
	ds_write2_b64 v39, v[42:43], v[40:41] offset0:3 offset1:4
	ds_write2_b64 v39, v[60:61], v[50:51] offset0:5 offset1:6
	s_waitcnt lgkmcnt(0)
	; wave barrier
	s_waitcnt lgkmcnt(0)
	ds_read2_b64 v[40:43], v38 offset1:7
	ds_read2_b64 v[44:47], v38 offset0:14 offset1:21
	ds_read_b64 v[58:59], v38 offset:336
	v_mov_b32_e32 v48, s0
	v_mov_b32_e32 v49, s1
	s_waitcnt lgkmcnt(2)
	v_mul_f32_e32 v9, v9, v42
	s_waitcnt lgkmcnt(1)
	v_mul_f32_e32 v53, v11, v45
	v_fma_f32 v50, v8, v43, -v9
	v_fmac_f32_e32 v53, v10, v44
	v_mov_b32_e32 v9, v10
	v_mov_b32_e32 v10, v5
	;; [unrolled: 1-line block ×4, first 2 shown]
	v_pk_mul_f32 v[10:11], v[10:11], v[54:55]
	v_mov_b32_e32 v8, v4
	v_mov_b32_e32 v44, v46
	v_pk_fma_f32 v[4:5], v[4:5], v[46:47], v[10:11] op_sel_hi:[0,1,1]
	v_pk_fma_f32 v[44:45], v[8:9], v[44:45], v[10:11] neg_lo:[0,0,1] neg_hi:[0,0,1]
	ds_read2_b64 v[8:11], v38 offset0:28 offset1:35
	v_mov_b32_e32 v57, v46
	v_mov_b32_e32 v56, v43
	;; [unrolled: 1-line block ×3, first 2 shown]
	v_pk_mul_f32 v[36:37], v[36:37], v[56:57]
	s_waitcnt lgkmcnt(0)
	v_mul_f32_e32 v1, v1, v11
	v_pk_fma_f32 v[42:43], v[34:35], v[46:47], v[36:37]
	v_pk_fma_f32 v[34:35], v[34:35], v[46:47], v[36:37] neg_lo:[0,0,1] neg_hi:[0,0,1]
	v_mov_b32_e32 v36, v9
	v_mov_b32_e32 v37, v11
	;; [unrolled: 1-line block ×7, first 2 shown]
	v_pk_mul_f32 v[6:7], v[6:7], v[46:47]
	v_fmac_f32_e32 v1, v0, v10
	v_mov_b32_e32 v10, v58
	v_pk_mul_f32 v[8:9], v[30:31], v[8:9]
	v_pk_fma_f32 v[46:47], v[32:33], v[36:37], v[6:7]
	v_pk_fma_f32 v[6:7], v[32:33], v[36:37], v[6:7] neg_lo:[0,0,1] neg_hi:[0,0,1]
	v_pk_fma_f32 v[30:31], v[28:29], v[10:11], v[8:9]
	v_pk_fma_f32 v[8:9], v[28:29], v[10:11], v[8:9] neg_lo:[0,0,1] neg_hi:[0,0,1]
	v_mul_f32_e32 v0, v3, v58
	v_mov_b32_e32 v5, v45
	v_mov_b32_e32 v43, v35
	v_mov_b32_e32 v47, v7
	v_mov_b32_e32 v31, v9
	v_fma_f32 v2, v2, v59, -v0
	v_add_f32_e32 v11, v50, v2
	v_mov_b32_e32 v51, v42
	v_mov_b32_e32 v3, v30
	v_add_f32_e32 v6, v53, v1
	v_mov_b32_e32 v52, v45
	v_mov_b32_e32 v0, v7
	v_pk_add_f32 v[28:29], v[4:5], v[46:47]
	v_pk_add_f32 v[30:31], v[42:43], v[30:31]
	v_mov_b32_e32 v8, v9
	v_mov_b32_e32 v9, v46
	;; [unrolled: 1-line block ×4, first 2 shown]
	v_pk_add_f32 v[2:3], v[50:51], v[2:3] neg_lo:[0,1] neg_hi:[0,1]
	v_pk_add_f32 v[0:1], v[52:53], v[0:1] neg_lo:[0,1] neg_hi:[0,1]
	;; [unrolled: 1-line block ×3, first 2 shown]
	v_mov_b32_e32 v7, v29
	v_mov_b32_e32 v10, v30
	;; [unrolled: 1-line block ×6, first 2 shown]
	v_pk_add_f32 v[8:9], v[6:7], v[10:11]
	v_pk_add_f32 v[32:33], v[32:33], v[34:35] neg_lo:[0,1] neg_hi:[0,1]
	v_pk_add_f32 v[34:35], v[30:31], v[28:29] neg_lo:[0,1] neg_hi:[0,1]
	v_mov_b32_e32 v42, v4
	v_mov_b32_e32 v43, v3
	;; [unrolled: 1-line block ×5, first 2 shown]
	v_pk_add_f32 v[36:37], v[4:5], v[0:1]
	v_pk_add_f32 v[42:43], v[42:43], v[44:45] neg_lo:[0,1] neg_hi:[0,1]
	v_mov_b32_e32 v44, v2
	v_mov_b32_e32 v5, v1
	v_pk_add_f32 v[8:9], v[28:29], v[8:9]
	v_pk_add_f32 v[4:5], v[44:45], v[4:5] neg_lo:[0,1] neg_hi:[0,1]
	v_pk_add_f32 v[30:31], v[8:9], v[40:41]
	v_pk_mul_f32 v[32:33], v[32:33], s[12:13]
	v_pk_mul_f32 v[42:43], v[42:43], s[20:21]
	v_pk_add_f32 v[28:29], v[36:37], v[2:3]
	v_pk_mul_f32 v[36:37], v[34:35], s[14:15]
	v_pk_mul_f32 v[40:41], v[4:5], s[10:11]
	v_pk_fma_f32 v[8:9], v[8:9], s[2:3], v[30:31] op_sel_hi:[1,0,1] neg_lo:[1,0,0] neg_hi:[1,0,0]
	v_pk_fma_f32 v[34:35], v[34:35], s[14:15], v[32:33]
	v_pk_fma_f32 v[4:5], v[4:5], s[10:11], v[42:43]
	v_pk_add_f32 v[34:35], v[34:35], v[8:9]
	v_pk_fma_f32 v[4:5], v[28:29], s[8:9], v[4:5] op_sel_hi:[1,0,1]
	v_pk_add_f32 v[6:7], v[6:7], v[10:11] neg_lo:[0,1] neg_hi:[0,1]
	v_pk_add_f32 v[0:1], v[0:1], v[2:3] neg_lo:[0,1] neg_hi:[0,1]
	v_mov_b32_e32 v2, v36
	v_mov_b32_e32 v3, v33
	v_mov_b32_e32 v10, v40
	v_mov_b32_e32 v11, v43
	v_mov_b32_e32 v33, v37
	v_mov_b32_e32 v43, v41
	v_pk_add_f32 v[44:45], v[34:35], v[4:5]
	v_pk_add_f32 v[4:5], v[34:35], v[4:5] neg_lo:[0,1] neg_hi:[0,1]
	v_pk_fma_f32 v[2:3], v[6:7], s[16:17], v[2:3] op_sel_hi:[1,0,1] neg_lo:[1,0,1] neg_hi:[1,0,1]
	v_pk_fma_f32 v[10:11], v[0:1], s[18:19], v[10:11] op_sel_hi:[1,0,1] neg_lo:[1,0,1] neg_hi:[1,0,1]
	;; [unrolled: 1-line block ×4, first 2 shown]
	v_mov_b32_e32 v34, v44
	v_mov_b32_e32 v35, v5
	v_pk_add_f32 v[2:3], v[2:3], v[8:9]
	v_pk_fma_f32 v[10:11], v[28:29], s[8:9], v[10:11] op_sel_hi:[1,0,1]
	v_pk_add_f32 v[6:7], v[6:7], v[8:9]
	v_pk_fma_f32 v[0:1], v[28:29], s[8:9], v[0:1] op_sel_hi:[1,0,1]
	ds_write2_b64 v38, v[30:31], v[34:35] offset1:7
	v_pk_add_f32 v[30:31], v[2:3], v[10:11]
	v_pk_add_f32 v[2:3], v[2:3], v[10:11] neg_lo:[0,1] neg_hi:[0,1]
	v_pk_add_f32 v[8:9], v[6:7], v[0:1] neg_lo:[0,1] neg_hi:[0,1]
	v_pk_add_f32 v[0:1], v[6:7], v[0:1]
	v_mov_b32_e32 v10, v30
	v_mov_b32_e32 v11, v3
	;; [unrolled: 1-line block ×7, first 2 shown]
	ds_write2_b64 v38, v[10:11], v[6:7] offset0:14 offset1:21
	ds_write2_b64 v38, v[0:1], v[2:3] offset0:28 offset1:35
	ds_write_b64 v38, v[4:5] offset:336
	s_waitcnt lgkmcnt(0)
	; wave barrier
	s_waitcnt lgkmcnt(0)
	ds_read2_b64 v[0:3], v38 offset1:7
	v_mad_u64_u32 v[54:55], s[0:1], s6, v12, 0
	v_mov_b32_e32 v4, v55
	v_mad_u64_u32 v[4:5], s[0:1], s7, v12, v[4:5]
	v_mov_b32_e32 v55, v4
	s_waitcnt lgkmcnt(0)
	v_mul_f32_e32 v4, v27, v1
	v_fmac_f32_e32 v4, v26, v0
	v_mul_f32_e32 v0, v27, v0
	s_mov_b32 s0, 0xa72f0539
	v_fma_f32 v0, v26, v1, -v0
	v_cvt_f64_f32_e32 v[4:5], v4
	s_mov_b32 s1, 0x3f94e5e0
	v_cvt_f64_f32_e32 v[0:1], v0
	v_mul_f64 v[4:5], v[4:5], s[0:1]
	v_mul_f64 v[0:1], v[0:1], s[0:1]
	v_cvt_f32_f64_e32 v4, v[4:5]
	v_cvt_f32_f64_e32 v5, v[0:1]
	v_mad_u64_u32 v[0:1], s[2:3], s4, v13, 0
	v_mov_b32_e32 v6, v1
	v_mad_u64_u32 v[6:7], s[2:3], s5, v13, v[6:7]
	v_mov_b32_e32 v1, v6
	v_lshl_add_u64 v[6:7], v[54:55], 3, v[48:49]
	v_lshl_add_u64 v[6:7], v[0:1], 3, v[6:7]
	v_mul_f32_e32 v0, v25, v3
	v_fmac_f32_e32 v0, v24, v2
	v_cvt_f64_f32_e32 v[0:1], v0
	v_mul_f64 v[0:1], v[0:1], s[0:1]
	global_store_dwordx2 v[6:7], v[4:5], off
	v_cvt_f32_f64_e32 v4, v[0:1]
	v_mul_f32_e32 v0, v25, v2
	v_fma_f32 v0, v24, v3, -v0
	v_cvt_f64_f32_e32 v[0:1], v0
	v_mul_f64 v[0:1], v[0:1], s[0:1]
	v_cvt_f32_f64_e32 v5, v[0:1]
	ds_read2_b64 v[0:3], v38 offset0:14 offset1:21
	v_mad_u64_u32 v[6:7], s[2:3], s4, 56, v[6:7]
	s_mul_i32 s5, s5, 56
	v_add_u32_e32 v7, s5, v7
	global_store_dwordx2 v[6:7], v[4:5], off
	s_waitcnt lgkmcnt(0)
	v_mul_f32_e32 v4, v23, v1
	v_fmac_f32_e32 v4, v22, v0
	v_mul_f32_e32 v0, v23, v0
	v_fma_f32 v0, v22, v1, -v0
	v_cvt_f64_f32_e32 v[4:5], v4
	v_cvt_f64_f32_e32 v[0:1], v0
	v_mul_f64 v[4:5], v[4:5], s[0:1]
	v_mul_f64 v[0:1], v[0:1], s[0:1]
	v_cvt_f32_f64_e32 v4, v[4:5]
	v_cvt_f32_f64_e32 v5, v[0:1]
	v_mul_f32_e32 v0, v21, v3
	v_fmac_f32_e32 v0, v20, v2
	v_mad_u64_u32 v[6:7], s[2:3], s4, 56, v[6:7]
	v_cvt_f64_f32_e32 v[0:1], v0
	v_add_u32_e32 v7, s5, v7
	v_mul_f64 v[0:1], v[0:1], s[0:1]
	global_store_dwordx2 v[6:7], v[4:5], off
	v_cvt_f32_f64_e32 v4, v[0:1]
	v_mul_f32_e32 v0, v21, v2
	v_fma_f32 v0, v20, v3, -v0
	v_cvt_f64_f32_e32 v[0:1], v0
	v_mul_f64 v[0:1], v[0:1], s[0:1]
	v_cvt_f32_f64_e32 v5, v[0:1]
	ds_read2_b64 v[0:3], v38 offset0:28 offset1:35
	v_mad_u64_u32 v[6:7], s[2:3], s4, 56, v[6:7]
	v_add_u32_e32 v7, s5, v7
	global_store_dwordx2 v[6:7], v[4:5], off
	s_waitcnt lgkmcnt(0)
	v_mul_f32_e32 v4, v19, v1
	v_fmac_f32_e32 v4, v18, v0
	v_mul_f32_e32 v0, v19, v0
	v_fma_f32 v0, v18, v1, -v0
	v_cvt_f64_f32_e32 v[4:5], v4
	v_cvt_f64_f32_e32 v[0:1], v0
	v_mul_f64 v[4:5], v[4:5], s[0:1]
	v_mul_f64 v[0:1], v[0:1], s[0:1]
	v_cvt_f32_f64_e32 v4, v[4:5]
	v_cvt_f32_f64_e32 v5, v[0:1]
	v_mad_u64_u32 v[0:1], s[2:3], s4, 56, v[6:7]
	v_add_u32_e32 v1, s5, v1
	global_store_dwordx2 v[0:1], v[4:5], off
	v_mul_f32_e32 v4, v17, v3
	v_fmac_f32_e32 v4, v16, v2
	v_mul_f32_e32 v2, v17, v2
	v_fma_f32 v2, v16, v3, -v2
	v_cvt_f64_f32_e32 v[4:5], v4
	v_cvt_f64_f32_e32 v[2:3], v2
	v_mul_f64 v[4:5], v[4:5], s[0:1]
	v_mul_f64 v[2:3], v[2:3], s[0:1]
	v_cvt_f32_f64_e32 v4, v[4:5]
	v_cvt_f32_f64_e32 v5, v[2:3]
	ds_read_b64 v[2:3], v38 offset:336
	v_mad_u64_u32 v[0:1], s[2:3], s4, 56, v[0:1]
	v_add_u32_e32 v1, s5, v1
	global_store_dwordx2 v[0:1], v[4:5], off
	s_waitcnt lgkmcnt(0)
	v_mul_f32_e32 v4, v15, v3
	v_fmac_f32_e32 v4, v14, v2
	v_mul_f32_e32 v2, v15, v2
	v_fma_f32 v2, v14, v3, -v2
	v_cvt_f64_f32_e32 v[4:5], v4
	v_cvt_f64_f32_e32 v[2:3], v2
	v_mul_f64 v[4:5], v[4:5], s[0:1]
	v_mul_f64 v[2:3], v[2:3], s[0:1]
	v_mad_u64_u32 v[0:1], s[0:1], s4, 56, v[0:1]
	v_cvt_f32_f64_e32 v4, v[4:5]
	v_cvt_f32_f64_e32 v5, v[2:3]
	v_add_u32_e32 v1, s5, v1
	global_store_dwordx2 v[0:1], v[4:5], off
.LBB0_2:
	s_endpgm
	.section	.rodata,"a",@progbits
	.p2align	6, 0x0
	.amdhsa_kernel bluestein_single_back_len49_dim1_sp_op_CI_CI
		.amdhsa_group_segment_fixed_size 3528
		.amdhsa_private_segment_fixed_size 0
		.amdhsa_kernarg_size 104
		.amdhsa_user_sgpr_count 2
		.amdhsa_user_sgpr_dispatch_ptr 0
		.amdhsa_user_sgpr_queue_ptr 0
		.amdhsa_user_sgpr_kernarg_segment_ptr 1
		.amdhsa_user_sgpr_dispatch_id 0
		.amdhsa_user_sgpr_kernarg_preload_length 0
		.amdhsa_user_sgpr_kernarg_preload_offset 0
		.amdhsa_user_sgpr_private_segment_size 0
		.amdhsa_uses_dynamic_stack 0
		.amdhsa_enable_private_segment 0
		.amdhsa_system_sgpr_workgroup_id_x 1
		.amdhsa_system_sgpr_workgroup_id_y 0
		.amdhsa_system_sgpr_workgroup_id_z 0
		.amdhsa_system_sgpr_workgroup_info 0
		.amdhsa_system_vgpr_workitem_id 0
		.amdhsa_next_free_vgpr 74
		.amdhsa_next_free_sgpr 26
		.amdhsa_accum_offset 76
		.amdhsa_reserve_vcc 1
		.amdhsa_float_round_mode_32 0
		.amdhsa_float_round_mode_16_64 0
		.amdhsa_float_denorm_mode_32 3
		.amdhsa_float_denorm_mode_16_64 3
		.amdhsa_dx10_clamp 1
		.amdhsa_ieee_mode 1
		.amdhsa_fp16_overflow 0
		.amdhsa_tg_split 0
		.amdhsa_exception_fp_ieee_invalid_op 0
		.amdhsa_exception_fp_denorm_src 0
		.amdhsa_exception_fp_ieee_div_zero 0
		.amdhsa_exception_fp_ieee_overflow 0
		.amdhsa_exception_fp_ieee_underflow 0
		.amdhsa_exception_fp_ieee_inexact 0
		.amdhsa_exception_int_div_zero 0
	.end_amdhsa_kernel
	.text
.Lfunc_end0:
	.size	bluestein_single_back_len49_dim1_sp_op_CI_CI, .Lfunc_end0-bluestein_single_back_len49_dim1_sp_op_CI_CI
                                        ; -- End function
	.section	.AMDGPU.csdata,"",@progbits
; Kernel info:
; codeLenInByte = 4472
; NumSgprs: 32
; NumVgprs: 74
; NumAgprs: 0
; TotalNumVgprs: 74
; ScratchSize: 0
; MemoryBound: 0
; FloatMode: 240
; IeeeMode: 1
; LDSByteSize: 3528 bytes/workgroup (compile time only)
; SGPRBlocks: 3
; VGPRBlocks: 9
; NumSGPRsForWavesPerEU: 32
; NumVGPRsForWavesPerEU: 74
; AccumOffset: 76
; Occupancy: 6
; WaveLimiterHint : 1
; COMPUTE_PGM_RSRC2:SCRATCH_EN: 0
; COMPUTE_PGM_RSRC2:USER_SGPR: 2
; COMPUTE_PGM_RSRC2:TRAP_HANDLER: 0
; COMPUTE_PGM_RSRC2:TGID_X_EN: 1
; COMPUTE_PGM_RSRC2:TGID_Y_EN: 0
; COMPUTE_PGM_RSRC2:TGID_Z_EN: 0
; COMPUTE_PGM_RSRC2:TIDIG_COMP_CNT: 0
; COMPUTE_PGM_RSRC3_GFX90A:ACCUM_OFFSET: 18
; COMPUTE_PGM_RSRC3_GFX90A:TG_SPLIT: 0
	.text
	.p2alignl 6, 3212836864
	.fill 256, 4, 3212836864
	.type	__hip_cuid_a07c4da1d33b073d,@object ; @__hip_cuid_a07c4da1d33b073d
	.section	.bss,"aw",@nobits
	.globl	__hip_cuid_a07c4da1d33b073d
__hip_cuid_a07c4da1d33b073d:
	.byte	0                               ; 0x0
	.size	__hip_cuid_a07c4da1d33b073d, 1

	.ident	"AMD clang version 19.0.0git (https://github.com/RadeonOpenCompute/llvm-project roc-6.4.0 25133 c7fe45cf4b819c5991fe208aaa96edf142730f1d)"
	.section	".note.GNU-stack","",@progbits
	.addrsig
	.addrsig_sym __hip_cuid_a07c4da1d33b073d
	.amdgpu_metadata
---
amdhsa.kernels:
  - .agpr_count:     0
    .args:
      - .actual_access:  read_only
        .address_space:  global
        .offset:         0
        .size:           8
        .value_kind:     global_buffer
      - .actual_access:  read_only
        .address_space:  global
        .offset:         8
        .size:           8
        .value_kind:     global_buffer
      - .actual_access:  read_only
        .address_space:  global
        .offset:         16
        .size:           8
        .value_kind:     global_buffer
      - .actual_access:  read_only
        .address_space:  global
        .offset:         24
        .size:           8
        .value_kind:     global_buffer
      - .actual_access:  read_only
        .address_space:  global
        .offset:         32
        .size:           8
        .value_kind:     global_buffer
      - .offset:         40
        .size:           8
        .value_kind:     by_value
      - .address_space:  global
        .offset:         48
        .size:           8
        .value_kind:     global_buffer
      - .address_space:  global
        .offset:         56
        .size:           8
        .value_kind:     global_buffer
      - .address_space:  global
        .offset:         64
        .size:           8
        .value_kind:     global_buffer
      - .address_space:  global
        .offset:         72
        .size:           8
        .value_kind:     global_buffer
      - .offset:         80
        .size:           4
        .value_kind:     by_value
      - .address_space:  global
        .offset:         88
        .size:           8
        .value_kind:     global_buffer
      - .address_space:  global
        .offset:         96
        .size:           8
        .value_kind:     global_buffer
    .group_segment_fixed_size: 3528
    .kernarg_segment_align: 8
    .kernarg_segment_size: 104
    .language:       OpenCL C
    .language_version:
      - 2
      - 0
    .max_flat_workgroup_size: 63
    .name:           bluestein_single_back_len49_dim1_sp_op_CI_CI
    .private_segment_fixed_size: 0
    .sgpr_count:     32
    .sgpr_spill_count: 0
    .symbol:         bluestein_single_back_len49_dim1_sp_op_CI_CI.kd
    .uniform_work_group_size: 1
    .uses_dynamic_stack: false
    .vgpr_count:     74
    .vgpr_spill_count: 0
    .wavefront_size: 64
amdhsa.target:   amdgcn-amd-amdhsa--gfx950
amdhsa.version:
  - 1
  - 2
...

	.end_amdgpu_metadata
